;; amdgpu-corpus repo=ROCm/rocFFT kind=compiled arch=gfx906 opt=O3
	.text
	.amdgcn_target "amdgcn-amd-amdhsa--gfx906"
	.amdhsa_code_object_version 6
	.protected	fft_rtc_back_len450_factors_10_5_3_3_wgs_120_tpt_30_halfLds_sp_ip_CI_sbrr_dirReg ; -- Begin function fft_rtc_back_len450_factors_10_5_3_3_wgs_120_tpt_30_halfLds_sp_ip_CI_sbrr_dirReg
	.globl	fft_rtc_back_len450_factors_10_5_3_3_wgs_120_tpt_30_halfLds_sp_ip_CI_sbrr_dirReg
	.p2align	8
	.type	fft_rtc_back_len450_factors_10_5_3_3_wgs_120_tpt_30_halfLds_sp_ip_CI_sbrr_dirReg,@function
fft_rtc_back_len450_factors_10_5_3_3_wgs_120_tpt_30_halfLds_sp_ip_CI_sbrr_dirReg: ; @fft_rtc_back_len450_factors_10_5_3_3_wgs_120_tpt_30_halfLds_sp_ip_CI_sbrr_dirReg
; %bb.0:
	s_load_dwordx2 s[14:15], s[4:5], 0x18
	s_load_dwordx4 s[8:11], s[4:5], 0x0
	s_load_dwordx2 s[12:13], s[4:5], 0x50
	v_mul_u32_u24_e32 v1, 0x889, v0
	v_lshrrev_b32_e32 v43, 16, v1
	s_waitcnt lgkmcnt(0)
	s_load_dwordx2 s[2:3], s[14:15], 0x0
	v_cmp_lt_u64_e64 s[0:1], s[10:11], 2
	v_mov_b32_e32 v3, 0
	v_mov_b32_e32 v1, 0
	v_lshl_add_u32 v5, s6, 2, v43
	v_mov_b32_e32 v6, v3
	s_and_b64 vcc, exec, s[0:1]
	v_mov_b32_e32 v2, 0
	s_cbranch_vccnz .LBB0_8
; %bb.1:
	s_load_dwordx2 s[0:1], s[4:5], 0x10
	s_add_u32 s6, s14, 8
	s_addc_u32 s7, s15, 0
	v_mov_b32_e32 v1, 0
	v_mov_b32_e32 v2, 0
	s_waitcnt lgkmcnt(0)
	s_add_u32 s16, s0, 8
	s_addc_u32 s17, s1, 0
	s_mov_b64 s[18:19], 1
.LBB0_2:                                ; =>This Inner Loop Header: Depth=1
	s_load_dwordx2 s[20:21], s[16:17], 0x0
                                        ; implicit-def: $vgpr7_vgpr8
	s_waitcnt lgkmcnt(0)
	v_or_b32_e32 v4, s21, v6
	v_cmp_ne_u64_e32 vcc, 0, v[3:4]
	s_and_saveexec_b64 s[0:1], vcc
	s_xor_b64 s[22:23], exec, s[0:1]
	s_cbranch_execz .LBB0_4
; %bb.3:                                ;   in Loop: Header=BB0_2 Depth=1
	v_cvt_f32_u32_e32 v4, s20
	v_cvt_f32_u32_e32 v7, s21
	s_sub_u32 s0, 0, s20
	s_subb_u32 s1, 0, s21
	v_mac_f32_e32 v4, 0x4f800000, v7
	v_rcp_f32_e32 v4, v4
	v_mul_f32_e32 v4, 0x5f7ffffc, v4
	v_mul_f32_e32 v7, 0x2f800000, v4
	v_trunc_f32_e32 v7, v7
	v_mac_f32_e32 v4, 0xcf800000, v7
	v_cvt_u32_f32_e32 v7, v7
	v_cvt_u32_f32_e32 v4, v4
	v_mul_lo_u32 v8, s0, v7
	v_mul_hi_u32 v9, s0, v4
	v_mul_lo_u32 v11, s1, v4
	v_mul_lo_u32 v10, s0, v4
	v_add_u32_e32 v8, v9, v8
	v_add_u32_e32 v8, v8, v11
	v_mul_hi_u32 v9, v4, v10
	v_mul_lo_u32 v11, v4, v8
	v_mul_hi_u32 v13, v4, v8
	v_mul_hi_u32 v12, v7, v10
	v_mul_lo_u32 v10, v7, v10
	v_mul_hi_u32 v14, v7, v8
	v_add_co_u32_e32 v9, vcc, v9, v11
	v_addc_co_u32_e32 v11, vcc, 0, v13, vcc
	v_mul_lo_u32 v8, v7, v8
	v_add_co_u32_e32 v9, vcc, v9, v10
	v_addc_co_u32_e32 v9, vcc, v11, v12, vcc
	v_addc_co_u32_e32 v10, vcc, 0, v14, vcc
	v_add_co_u32_e32 v8, vcc, v9, v8
	v_addc_co_u32_e32 v9, vcc, 0, v10, vcc
	v_add_co_u32_e32 v4, vcc, v4, v8
	v_addc_co_u32_e32 v7, vcc, v7, v9, vcc
	v_mul_lo_u32 v8, s0, v7
	v_mul_hi_u32 v9, s0, v4
	v_mul_lo_u32 v10, s1, v4
	v_mul_lo_u32 v11, s0, v4
	v_add_u32_e32 v8, v9, v8
	v_add_u32_e32 v8, v8, v10
	v_mul_lo_u32 v12, v4, v8
	v_mul_hi_u32 v13, v4, v11
	v_mul_hi_u32 v14, v4, v8
	v_mul_hi_u32 v10, v7, v11
	v_mul_lo_u32 v11, v7, v11
	v_mul_hi_u32 v9, v7, v8
	v_add_co_u32_e32 v12, vcc, v13, v12
	v_addc_co_u32_e32 v13, vcc, 0, v14, vcc
	v_mul_lo_u32 v8, v7, v8
	v_add_co_u32_e32 v11, vcc, v12, v11
	v_addc_co_u32_e32 v10, vcc, v13, v10, vcc
	v_addc_co_u32_e32 v9, vcc, 0, v9, vcc
	v_add_co_u32_e32 v8, vcc, v10, v8
	v_addc_co_u32_e32 v9, vcc, 0, v9, vcc
	v_add_co_u32_e32 v4, vcc, v4, v8
	v_addc_co_u32_e32 v9, vcc, v7, v9, vcc
	v_mad_u64_u32 v[7:8], s[0:1], v5, v9, 0
	v_mul_hi_u32 v10, v5, v4
	v_add_co_u32_e32 v11, vcc, v10, v7
	v_addc_co_u32_e32 v12, vcc, 0, v8, vcc
	v_mad_u64_u32 v[7:8], s[0:1], v6, v4, 0
	v_mad_u64_u32 v[9:10], s[0:1], v6, v9, 0
	v_add_co_u32_e32 v4, vcc, v11, v7
	v_addc_co_u32_e32 v4, vcc, v12, v8, vcc
	v_addc_co_u32_e32 v7, vcc, 0, v10, vcc
	v_add_co_u32_e32 v4, vcc, v4, v9
	v_addc_co_u32_e32 v9, vcc, 0, v7, vcc
	v_mul_lo_u32 v10, s21, v4
	v_mul_lo_u32 v11, s20, v9
	v_mad_u64_u32 v[7:8], s[0:1], s20, v4, 0
	v_add3_u32 v8, v8, v11, v10
	v_sub_u32_e32 v10, v6, v8
	v_mov_b32_e32 v11, s21
	v_sub_co_u32_e32 v7, vcc, v5, v7
	v_subb_co_u32_e64 v10, s[0:1], v10, v11, vcc
	v_subrev_co_u32_e64 v11, s[0:1], s20, v7
	v_subbrev_co_u32_e64 v10, s[0:1], 0, v10, s[0:1]
	v_cmp_le_u32_e64 s[0:1], s21, v10
	v_cndmask_b32_e64 v12, 0, -1, s[0:1]
	v_cmp_le_u32_e64 s[0:1], s20, v11
	v_cndmask_b32_e64 v11, 0, -1, s[0:1]
	v_cmp_eq_u32_e64 s[0:1], s21, v10
	v_cndmask_b32_e64 v10, v12, v11, s[0:1]
	v_add_co_u32_e64 v11, s[0:1], 2, v4
	v_addc_co_u32_e64 v12, s[0:1], 0, v9, s[0:1]
	v_add_co_u32_e64 v13, s[0:1], 1, v4
	v_addc_co_u32_e64 v14, s[0:1], 0, v9, s[0:1]
	v_subb_co_u32_e32 v8, vcc, v6, v8, vcc
	v_cmp_ne_u32_e64 s[0:1], 0, v10
	v_cmp_le_u32_e32 vcc, s21, v8
	v_cndmask_b32_e64 v10, v14, v12, s[0:1]
	v_cndmask_b32_e64 v12, 0, -1, vcc
	v_cmp_le_u32_e32 vcc, s20, v7
	v_cndmask_b32_e64 v7, 0, -1, vcc
	v_cmp_eq_u32_e32 vcc, s21, v8
	v_cndmask_b32_e32 v7, v12, v7, vcc
	v_cmp_ne_u32_e32 vcc, 0, v7
	v_cndmask_b32_e64 v7, v13, v11, s[0:1]
	v_cndmask_b32_e32 v8, v9, v10, vcc
	v_cndmask_b32_e32 v7, v4, v7, vcc
.LBB0_4:                                ;   in Loop: Header=BB0_2 Depth=1
	s_andn2_saveexec_b64 s[0:1], s[22:23]
	s_cbranch_execz .LBB0_6
; %bb.5:                                ;   in Loop: Header=BB0_2 Depth=1
	v_cvt_f32_u32_e32 v4, s20
	s_sub_i32 s22, 0, s20
	v_rcp_iflag_f32_e32 v4, v4
	v_mul_f32_e32 v4, 0x4f7ffffe, v4
	v_cvt_u32_f32_e32 v4, v4
	v_mul_lo_u32 v7, s22, v4
	v_mul_hi_u32 v7, v4, v7
	v_add_u32_e32 v4, v4, v7
	v_mul_hi_u32 v4, v5, v4
	v_mul_lo_u32 v7, v4, s20
	v_add_u32_e32 v8, 1, v4
	v_sub_u32_e32 v7, v5, v7
	v_subrev_u32_e32 v9, s20, v7
	v_cmp_le_u32_e32 vcc, s20, v7
	v_cndmask_b32_e32 v7, v7, v9, vcc
	v_cndmask_b32_e32 v4, v4, v8, vcc
	v_add_u32_e32 v8, 1, v4
	v_cmp_le_u32_e32 vcc, s20, v7
	v_cndmask_b32_e32 v7, v4, v8, vcc
	v_mov_b32_e32 v8, v3
.LBB0_6:                                ;   in Loop: Header=BB0_2 Depth=1
	s_or_b64 exec, exec, s[0:1]
	v_mul_lo_u32 v4, v8, s20
	v_mul_lo_u32 v11, v7, s21
	v_mad_u64_u32 v[9:10], s[0:1], v7, s20, 0
	s_load_dwordx2 s[0:1], s[6:7], 0x0
	s_add_u32 s18, s18, 1
	v_add3_u32 v4, v10, v11, v4
	v_sub_co_u32_e32 v5, vcc, v5, v9
	v_subb_co_u32_e32 v4, vcc, v6, v4, vcc
	s_waitcnt lgkmcnt(0)
	v_mul_lo_u32 v4, s0, v4
	v_mul_lo_u32 v6, s1, v5
	v_mad_u64_u32 v[1:2], s[0:1], s0, v5, v[1:2]
	s_addc_u32 s19, s19, 0
	s_add_u32 s6, s6, 8
	v_add3_u32 v2, v6, v2, v4
	v_mov_b32_e32 v4, s10
	v_mov_b32_e32 v5, s11
	s_addc_u32 s7, s7, 0
	v_cmp_ge_u64_e32 vcc, s[18:19], v[4:5]
	s_add_u32 s16, s16, 8
	s_addc_u32 s17, s17, 0
	s_cbranch_vccnz .LBB0_9
; %bb.7:                                ;   in Loop: Header=BB0_2 Depth=1
	v_mov_b32_e32 v5, v7
	v_mov_b32_e32 v6, v8
	s_branch .LBB0_2
.LBB0_8:
	v_mov_b32_e32 v8, v6
	v_mov_b32_e32 v7, v5
.LBB0_9:
	s_lshl_b64 s[0:1], s[10:11], 3
	s_add_u32 s0, s14, s0
	s_addc_u32 s1, s15, s1
	s_load_dwordx2 s[6:7], s[0:1], 0x0
	s_load_dwordx2 s[10:11], s[4:5], 0x20
                                        ; implicit-def: $vgpr40
                                        ; implicit-def: $vgpr42
                                        ; implicit-def: $vgpr34
                                        ; implicit-def: $vgpr38
                                        ; implicit-def: $vgpr32
                                        ; implicit-def: $vgpr36
                                        ; implicit-def: $vgpr16
                                        ; implicit-def: $vgpr24
                                        ; implicit-def: $vgpr14
                                        ; implicit-def: $vgpr12
                                        ; implicit-def: $vgpr22
                                        ; implicit-def: $vgpr30
                                        ; implicit-def: $vgpr18
                                        ; implicit-def: $vgpr26
                                        ; implicit-def: $vgpr20
                                        ; implicit-def: $vgpr28
                                        ; implicit-def: $vgpr10
                                        ; implicit-def: $vgpr6
	s_waitcnt lgkmcnt(0)
	v_mad_u64_u32 v[1:2], s[0:1], s6, v7, v[1:2]
	v_mul_lo_u32 v3, s6, v8
	v_mul_lo_u32 v4, s7, v7
	s_mov_b32 s0, 0x8888889
	v_mul_hi_u32 v5, v0, s0
	v_cmp_gt_u64_e32 vcc, s[10:11], v[7:8]
	v_add3_u32 v2, v4, v2, v3
	v_lshlrev_b64 v[1:2], 3, v[1:2]
	v_mul_u32_u24_e32 v3, 30, v5
	v_sub_u32_e32 v0, v0, v3
                                        ; implicit-def: $vgpr8
                                        ; implicit-def: $vgpr4
	s_and_saveexec_b64 s[4:5], vcc
	s_cbranch_execz .LBB0_13
; %bb.10:
	v_mad_u64_u32 v[3:4], s[0:1], s2, v0, 0
	v_add_u32_e32 v8, 45, v0
	v_mov_b32_e32 v7, s13
	v_mad_u64_u32 v[4:5], s[0:1], s3, v0, v[4:5]
	v_mad_u64_u32 v[5:6], s[0:1], s2, v8, 0
	v_add_co_u32_e64 v40, s[0:1], s12, v1
	v_addc_co_u32_e64 v42, s[0:1], v7, v2, s[0:1]
	v_mad_u64_u32 v[6:7], s[0:1], s3, v8, v[6:7]
	v_add_u32_e32 v9, 0x5a, v0
	v_mad_u64_u32 v[7:8], s[0:1], s2, v9, 0
	v_lshlrev_b64 v[3:4], 3, v[3:4]
	v_add_u32_e32 v24, 0xe1, v0
	v_add_co_u32_e64 v11, s[0:1], v40, v3
	v_addc_co_u32_e64 v12, s[0:1], v42, v4, s[0:1]
	v_lshlrev_b64 v[3:4], 3, v[5:6]
	v_mov_b32_e32 v5, v8
	v_mad_u64_u32 v[5:6], s[0:1], s3, v9, v[5:6]
	v_add_u32_e32 v6, 0x87, v0
	v_mad_u64_u32 v[9:10], s[0:1], s2, v6, 0
	v_add_co_u32_e64 v13, s[0:1], v40, v3
	v_mov_b32_e32 v8, v5
	v_mov_b32_e32 v5, v10
	v_addc_co_u32_e64 v14, s[0:1], v42, v4, s[0:1]
	v_mad_u64_u32 v[5:6], s[0:1], s3, v6, v[5:6]
	v_lshlrev_b64 v[3:4], 3, v[7:8]
                                        ; implicit-def: $vgpr35
                                        ; implicit-def: $vgpr31
                                        ; implicit-def: $vgpr37
                                        ; implicit-def: $vgpr33
                                        ; implicit-def: $vgpr41
                                        ; implicit-def: $vgpr39
	v_add_co_u32_e64 v15, s[0:1], v40, v3
	v_mov_b32_e32 v10, v5
	v_add_u32_e32 v5, 0xb4, v0
	v_addc_co_u32_e64 v16, s[0:1], v42, v4, s[0:1]
	v_mad_u64_u32 v[17:18], s[0:1], s2, v5, 0
	v_lshlrev_b64 v[3:4], 3, v[9:10]
	v_add_co_u32_e64 v19, s[0:1], v40, v3
	v_mov_b32_e32 v3, v18
	v_addc_co_u32_e64 v20, s[0:1], v42, v4, s[0:1]
	v_mad_u64_u32 v[21:22], s[0:1], s3, v5, v[3:4]
	v_mad_u64_u32 v[22:23], s[0:1], s2, v24, 0
	global_load_dwordx2 v[3:4], v[11:12], off
	global_load_dwordx2 v[5:6], v[13:14], off
	global_load_dwordx2 v[9:10], v[15:16], off
	global_load_dwordx2 v[7:8], v[19:20], off
	v_mov_b32_e32 v18, v21
	v_mov_b32_e32 v13, v23
	v_lshlrev_b64 v[11:12], 3, v[17:18]
	v_mad_u64_u32 v[13:14], s[0:1], s3, v24, v[13:14]
	v_add_u32_e32 v18, 0x10e, v0
	v_mad_u64_u32 v[14:15], s[0:1], s2, v18, 0
	v_add_co_u32_e64 v11, s[0:1], v40, v11
	v_mov_b32_e32 v23, v13
	v_mov_b32_e32 v13, v15
	v_addc_co_u32_e64 v12, s[0:1], v42, v12, s[0:1]
	v_lshlrev_b64 v[16:17], 3, v[22:23]
	v_mad_u64_u32 v[18:19], s[0:1], s3, v18, v[13:14]
	v_add_u32_e32 v23, 0x13b, v0
	v_mad_u64_u32 v[19:20], s[0:1], s2, v23, 0
	v_mov_b32_e32 v15, v18
	v_add_co_u32_e64 v21, s[0:1], v40, v16
	v_lshlrev_b64 v[13:14], 3, v[14:15]
	v_mov_b32_e32 v15, v20
	v_addc_co_u32_e64 v22, s[0:1], v42, v17, s[0:1]
	v_mad_u64_u32 v[15:16], s[0:1], s3, v23, v[15:16]
	v_add_u32_e32 v23, 0x168, v0
	v_mad_u64_u32 v[16:17], s[0:1], s2, v23, 0
	v_add_co_u32_e64 v13, s[0:1], v40, v13
	v_mov_b32_e32 v20, v15
	v_mov_b32_e32 v15, v17
	v_addc_co_u32_e64 v14, s[0:1], v42, v14, s[0:1]
	v_mad_u64_u32 v[23:24], s[0:1], s3, v23, v[15:16]
	v_lshlrev_b64 v[18:19], 3, v[19:20]
	v_add_co_u32_e64 v29, s[0:1], v40, v18
	v_add_u32_e32 v18, 0x195, v0
	v_addc_co_u32_e64 v30, s[0:1], v42, v19, s[0:1]
	v_mov_b32_e32 v17, v23
	v_mad_u64_u32 v[23:24], s[0:1], s2, v18, 0
	v_lshlrev_b64 v[15:16], 3, v[16:17]
	v_add_co_u32_e64 v15, s[0:1], v40, v15
	v_mov_b32_e32 v17, v24
	v_addc_co_u32_e64 v16, s[0:1], v42, v16, s[0:1]
	v_mad_u64_u32 v[24:25], s[0:1], s3, v18, v[17:18]
	global_load_dwordx2 v[27:28], v[11:12], off
	global_load_dwordx2 v[19:20], v[21:22], off
	;; [unrolled: 1-line block ×4, first 2 shown]
                                        ; implicit-def: $vgpr13
	v_lshlrev_b64 v[11:12], 3, v[23:24]
                                        ; implicit-def: $vgpr23
	v_add_co_u32_e64 v11, s[0:1], v40, v11
	v_addc_co_u32_e64 v12, s[0:1], v42, v12, s[0:1]
	global_load_dwordx2 v[29:30], v[15:16], off
	global_load_dwordx2 v[21:22], v[11:12], off
	v_cmp_gt_u32_e64 s[0:1], 15, v0
                                        ; implicit-def: $vgpr11
                                        ; implicit-def: $vgpr15
	s_and_saveexec_b64 s[6:7], s[0:1]
	s_cbranch_execz .LBB0_12
; %bb.11:
	v_add_u32_e32 v15, 30, v0
	v_add_u32_e32 v23, 0x4b, v0
	v_mad_u64_u32 v[11:12], s[0:1], s2, v15, 0
	v_mad_u64_u32 v[13:14], s[0:1], s2, v23, 0
	v_add_u32_e32 v41, 0x1b3, v0
	v_mad_u64_u32 v[15:16], s[0:1], s3, v15, v[12:13]
	v_mov_b32_e32 v12, v15
	v_mad_u64_u32 v[14:15], s[0:1], s3, v23, v[14:15]
	v_add_u32_e32 v23, 0x78, v0
	v_mad_u64_u32 v[15:16], s[0:1], s2, v23, 0
	v_lshlrev_b64 v[11:12], 3, v[11:12]
	v_add_co_u32_e64 v31, s[0:1], v40, v11
	v_addc_co_u32_e64 v32, s[0:1], v42, v12, s[0:1]
	v_lshlrev_b64 v[11:12], 3, v[13:14]
	v_mov_b32_e32 v13, v16
	v_mad_u64_u32 v[13:14], s[0:1], s3, v23, v[13:14]
	v_add_u32_e32 v14, 0xa5, v0
	v_mad_u64_u32 v[23:24], s[0:1], s2, v14, 0
	v_add_co_u32_e64 v33, s[0:1], v40, v11
	v_mov_b32_e32 v16, v13
	v_mov_b32_e32 v13, v24
	v_addc_co_u32_e64 v34, s[0:1], v42, v12, s[0:1]
	v_mad_u64_u32 v[13:14], s[0:1], s3, v14, v[13:14]
	v_lshlrev_b64 v[11:12], 3, v[15:16]
	v_add_co_u32_e64 v35, s[0:1], v40, v11
	v_mov_b32_e32 v24, v13
	v_add_u32_e32 v13, 0xd2, v0
	v_addc_co_u32_e64 v36, s[0:1], v42, v12, s[0:1]
	v_mad_u64_u32 v[37:38], s[0:1], s2, v13, 0
	v_lshlrev_b64 v[11:12], 3, v[23:24]
	v_add_co_u32_e64 v44, s[0:1], v40, v11
	v_mov_b32_e32 v11, v38
	v_addc_co_u32_e64 v45, s[0:1], v42, v12, s[0:1]
	v_mad_u64_u32 v[38:39], s[0:1], s3, v13, v[11:12]
	v_add_u32_e32 v39, 0xff, v0
	v_mad_u64_u32 v[46:47], s[0:1], s2, v39, 0
	global_load_dwordx2 v[11:12], v[31:32], off
	global_load_dwordx2 v[13:14], v[33:34], off
	;; [unrolled: 1-line block ×4, first 2 shown]
	v_add_u32_e32 v36, 0x12c, v0
	v_mov_b32_e32 v33, v47
	v_mad_u64_u32 v[33:34], s[0:1], s3, v39, v[33:34]
	v_mad_u64_u32 v[34:35], s[0:1], s2, v36, 0
	v_lshlrev_b64 v[31:32], 3, v[37:38]
	v_mov_b32_e32 v47, v33
	v_add_co_u32_e64 v44, s[0:1], v40, v31
	v_mov_b32_e32 v33, v35
	v_addc_co_u32_e64 v45, s[0:1], v42, v32, s[0:1]
	v_mad_u64_u32 v[35:36], s[0:1], s3, v36, v[33:34]
	v_add_u32_e32 v38, 0x159, v0
	v_mad_u64_u32 v[36:37], s[0:1], s2, v38, 0
	v_lshlrev_b64 v[31:32], 3, v[46:47]
	v_add_co_u32_e64 v46, s[0:1], v40, v31
	v_mov_b32_e32 v33, v37
	v_addc_co_u32_e64 v47, s[0:1], v42, v32, s[0:1]
	v_lshlrev_b64 v[31:32], 3, v[34:35]
	v_mad_u64_u32 v[33:34], s[0:1], s3, v38, v[33:34]
	v_add_co_u32_e64 v48, s[0:1], v40, v31
	v_mov_b32_e32 v37, v33
	v_add_u32_e32 v33, 0x186, v0
	v_addc_co_u32_e64 v49, s[0:1], v42, v32, s[0:1]
	v_mad_u64_u32 v[50:51], s[0:1], s2, v33, 0
	v_lshlrev_b64 v[31:32], 3, v[36:37]
	v_add_co_u32_e64 v52, s[0:1], v40, v31
	v_mov_b32_e32 v31, v51
	v_addc_co_u32_e64 v53, s[0:1], v42, v32, s[0:1]
	v_mad_u64_u32 v[54:55], s[0:1], s3, v33, v[31:32]
	v_mad_u64_u32 v[55:56], s[0:1], s2, v41, 0
	global_load_dwordx2 v[35:36], v[44:45], off
	global_load_dwordx2 v[31:32], v[46:47], off
	;; [unrolled: 1-line block ×4, first 2 shown]
	v_mov_b32_e32 v51, v54
	v_mov_b32_e32 v39, v56
	v_mad_u64_u32 v[46:47], s[0:1], s3, v41, v[39:40]
	v_lshlrev_b64 v[44:45], 3, v[50:51]
	v_mov_b32_e32 v56, v46
	v_add_co_u32_e64 v44, s[0:1], v40, v44
	v_lshlrev_b64 v[46:47], 3, v[55:56]
	v_addc_co_u32_e64 v45, s[0:1], v42, v45, s[0:1]
	v_add_co_u32_e64 v46, s[0:1], v40, v46
	v_addc_co_u32_e64 v47, s[0:1], v42, v47, s[0:1]
	global_load_dwordx2 v[41:42], v[44:45], off
	global_load_dwordx2 v[39:40], v[46:47], off
.LBB0_12:
	s_or_b64 exec, exec, s[6:7]
.LBB0_13:
	s_or_b64 exec, exec, s[4:5]
	s_waitcnt vmcnt(3)
	v_add_f32_e32 v45, v25, v27
	v_fma_f32 v46, -0.5, v45, v3
	s_waitcnt vmcnt(1)
	v_sub_f32_e32 v45, v10, v30
	v_mov_b32_e32 v56, v46
	v_fmac_f32_e32 v56, 0xbf737871, v45
	v_sub_f32_e32 v47, v28, v26
	v_sub_f32_e32 v48, v9, v27
	;; [unrolled: 1-line block ×3, first 2 shown]
	v_fmac_f32_e32 v46, 0x3f737871, v45
	v_fmac_f32_e32 v56, 0xbf167918, v47
	v_add_f32_e32 v48, v49, v48
	v_fmac_f32_e32 v46, 0x3f167918, v47
	v_fmac_f32_e32 v56, 0x3e9e377a, v48
	;; [unrolled: 1-line block ×3, first 2 shown]
	v_add_f32_e32 v48, v29, v9
	v_add_f32_e32 v44, v9, v3
	v_fmac_f32_e32 v3, -0.5, v48
	v_mov_b32_e32 v58, v3
	v_fmac_f32_e32 v58, 0x3f737871, v47
	v_fmac_f32_e32 v3, 0xbf737871, v47
	v_fmac_f32_e32 v58, 0xbf167918, v45
	v_fmac_f32_e32 v3, 0x3f167918, v45
	v_add_f32_e32 v45, v7, v5
	v_add_f32_e32 v45, v19, v45
	;; [unrolled: 1-line block ×3, first 2 shown]
	s_waitcnt vmcnt(0)
	v_add_f32_e32 v54, v21, v45
	v_add_f32_e32 v45, v17, v19
	v_sub_f32_e32 v48, v27, v9
	v_sub_f32_e32 v49, v25, v29
	v_fma_f32 v45, -0.5, v45, v5
	v_add_f32_e32 v48, v49, v48
	v_sub_f32_e32 v49, v8, v22
	v_mov_b32_e32 v47, v45
	v_fmac_f32_e32 v58, 0x3e9e377a, v48
	v_fmac_f32_e32 v3, 0x3e9e377a, v48
	;; [unrolled: 1-line block ×3, first 2 shown]
	v_sub_f32_e32 v50, v20, v18
	v_sub_f32_e32 v48, v7, v19
	;; [unrolled: 1-line block ×3, first 2 shown]
	v_fmac_f32_e32 v45, 0x3f737871, v49
	v_fmac_f32_e32 v47, 0xbf167918, v50
	v_add_f32_e32 v48, v51, v48
	v_fmac_f32_e32 v45, 0x3f167918, v50
	v_fmac_f32_e32 v47, 0x3e9e377a, v48
	;; [unrolled: 1-line block ×3, first 2 shown]
	v_add_f32_e32 v48, v21, v7
	v_fmac_f32_e32 v5, -0.5, v48
	v_mov_b32_e32 v48, v5
	v_fmac_f32_e32 v48, 0x3f737871, v50
	v_fmac_f32_e32 v5, 0xbf737871, v50
	;; [unrolled: 1-line block ×4, first 2 shown]
	v_add_f32_e32 v49, v18, v20
	v_fma_f32 v49, -0.5, v49, v6
	v_sub_f32_e32 v51, v19, v7
	v_sub_f32_e32 v52, v17, v21
	;; [unrolled: 1-line block ×3, first 2 shown]
	v_mov_b32_e32 v7, v49
	v_fmac_f32_e32 v7, 0x3f737871, v21
	v_sub_f32_e32 v50, v19, v17
	v_sub_f32_e32 v17, v8, v20
	;; [unrolled: 1-line block ×3, first 2 shown]
	v_fmac_f32_e32 v49, 0xbf737871, v21
	v_fmac_f32_e32 v7, 0x3f167918, v50
	v_add_f32_e32 v17, v19, v17
	v_fmac_f32_e32 v49, 0xbf167918, v50
	v_fmac_f32_e32 v7, 0x3e9e377a, v17
	;; [unrolled: 1-line block ×3, first 2 shown]
	v_add_f32_e32 v17, v22, v8
	v_fma_f32 v17, -0.5, v17, v6
	v_add_f32_e32 v51, v52, v51
	v_mov_b32_e32 v19, v17
	v_fmac_f32_e32 v48, 0x3e9e377a, v51
	v_fmac_f32_e32 v5, 0x3e9e377a, v51
	;; [unrolled: 1-line block ×3, first 2 shown]
	v_sub_f32_e32 v51, v20, v8
	v_sub_f32_e32 v52, v18, v22
	v_fmac_f32_e32 v17, 0x3f737871, v50
	v_fmac_f32_e32 v19, 0x3f167918, v21
	v_add_f32_e32 v51, v52, v51
	v_fmac_f32_e32 v17, 0xbf167918, v21
	v_fmac_f32_e32 v19, 0x3e9e377a, v51
	;; [unrolled: 1-line block ×3, first 2 shown]
	v_add_f32_e32 v44, v27, v44
	v_mul_f32_e32 v21, 0xbf167918, v7
	v_mul_f32_e32 v59, 0xbf737871, v19
	;; [unrolled: 1-line block ×3, first 2 shown]
	v_add_f32_e32 v44, v25, v44
	v_fmac_f32_e32 v21, 0x3f4f1bbd, v47
	v_fmac_f32_e32 v59, 0x3e9e377a, v48
	;; [unrolled: 1-line block ×3, first 2 shown]
	v_and_b32_e32 v43, 3, v43
	v_add_f32_e32 v44, v29, v44
	v_add_f32_e32 v51, v56, v21
	;; [unrolled: 1-line block ×4, first 2 shown]
	v_mul_f32_e32 v61, 0xbf167918, v49
	v_sub_f32_e32 v57, v56, v21
	v_sub_f32_e32 v58, v58, v59
	;; [unrolled: 1-line block ×3, first 2 shown]
	v_add_f32_e32 v3, v33, v31
	v_mul_u32_u24_e32 v21, 10, v0
	v_mul_u32_u24_e32 v43, 0x1c2, v43
	v_add_f32_e32 v50, v54, v44
	v_fmac_f32_e32 v61, 0xbf4f1bbd, v45
	v_sub_f32_e32 v55, v44, v54
	v_fma_f32 v44, -0.5, v3, v13
	v_lshl_add_u32 v21, v21, 2, 0
	v_add_f32_e32 v54, v46, v61
	v_sub_f32_e32 v60, v46, v61
	v_sub_f32_e32 v3, v16, v40
	v_mov_b32_e32 v46, v44
	v_lshl_add_u32 v56, v43, 2, v21
	v_fmac_f32_e32 v46, 0xbf737871, v3
	ds_write2_b64 v56, v[50:51], v[52:53] offset1:1
	v_sub_f32_e32 v21, v32, v34
	v_sub_f32_e32 v50, v15, v31
	;; [unrolled: 1-line block ×3, first 2 shown]
	v_fmac_f32_e32 v44, 0x3f737871, v3
	v_fmac_f32_e32 v46, 0xbf167918, v21
	v_add_f32_e32 v50, v51, v50
	v_fmac_f32_e32 v44, 0x3f167918, v21
	v_fmac_f32_e32 v46, 0x3e9e377a, v50
	;; [unrolled: 1-line block ×3, first 2 shown]
	v_add_f32_e32 v50, v39, v15
	v_fma_f32 v50, -0.5, v50, v13
	v_sub_f32_e32 v51, v31, v15
	v_sub_f32_e32 v52, v33, v39
	v_add_f32_e32 v52, v52, v51
	v_mov_b32_e32 v51, v50
	v_fmac_f32_e32 v51, 0x3f737871, v21
	v_fmac_f32_e32 v50, 0xbf737871, v21
	;; [unrolled: 1-line block ×4, first 2 shown]
	v_add_f32_e32 v3, v34, v32
	v_fmac_f32_e32 v51, 0x3e9e377a, v52
	v_fmac_f32_e32 v50, 0x3e9e377a, v52
	v_fma_f32 v52, -0.5, v3, v14
	v_sub_f32_e32 v3, v15, v39
	v_mov_b32_e32 v53, v52
	v_fmac_f32_e32 v53, 0x3f737871, v3
	ds_write2_b64 v56, v[54:55], v[57:58] offset0:2 offset1:3
	v_sub_f32_e32 v21, v31, v33
	v_sub_f32_e32 v54, v16, v32
	;; [unrolled: 1-line block ×3, first 2 shown]
	v_fmac_f32_e32 v52, 0xbf737871, v3
	v_fmac_f32_e32 v53, 0x3f167918, v21
	v_add_f32_e32 v54, v55, v54
	v_fmac_f32_e32 v52, 0xbf167918, v21
	v_fmac_f32_e32 v53, 0x3e9e377a, v54
	;; [unrolled: 1-line block ×3, first 2 shown]
	v_add_f32_e32 v54, v40, v16
	v_fma_f32 v54, -0.5, v54, v14
	v_sub_f32_e32 v55, v32, v16
	v_sub_f32_e32 v57, v34, v40
	v_add_f32_e32 v57, v57, v55
	v_mov_b32_e32 v55, v54
	v_fmac_f32_e32 v55, 0xbf737871, v21
	v_fmac_f32_e32 v54, 0x3f737871, v21
	;; [unrolled: 1-line block ×4, first 2 shown]
	s_mov_b32 s6, 0x3f737871
	s_mov_b32 s7, 0x3f167918
	v_fmac_f32_e32 v55, 0x3e9e377a, v57
	v_fmac_f32_e32 v54, 0x3e9e377a, v57
	v_cmp_gt_u32_e64 s[0:1], 15, v0
	ds_write_b64 v56, v[59:60] offset:32
	s_and_saveexec_b64 s[4:5], s[0:1]
	s_cbranch_execz .LBB0_15
; %bb.14:
	v_sub_f32_e32 v3, v23, v35
	v_sub_f32_e32 v21, v41, v37
	v_add_f32_e32 v3, v21, v3
	v_add_f32_e32 v21, v37, v35
	v_sub_f32_e32 v57, v35, v23
	v_sub_f32_e32 v60, v37, v41
	v_fma_f32 v21, -0.5, v21, v11
	v_add_f32_e32 v60, v60, v57
	v_add_f32_e32 v57, v41, v23
	v_sub_f32_e32 v59, v24, v42
	v_mov_b32_e32 v61, v21
	v_fma_f32 v65, -0.5, v57, v11
	v_fmac_f32_e32 v61, 0x3f737871, v59
	v_sub_f32_e32 v62, v36, v38
	v_mov_b32_e32 v64, v65
	v_fmac_f32_e32 v21, 0xbf737871, v59
	v_add_f32_e32 v11, v23, v11
	v_add_f32_e32 v13, v15, v13
	v_fmac_f32_e32 v61, 0x3f167918, v62
	v_fmac_f32_e32 v64, 0xbf737871, v62
	v_fmac_f32_e32 v65, 0x3f737871, v62
	v_fmac_f32_e32 v21, 0xbf167918, v62
	v_add_f32_e32 v11, v35, v11
	v_add_f32_e32 v13, v31, v13
	v_fmac_f32_e32 v61, 0x3e9e377a, v3
	v_mul_f32_e32 v63, 0xbf167918, v52
	v_fmac_f32_e32 v64, 0x3f167918, v59
	v_mul_f32_e32 v66, 0xbf737871, v54
	v_fmac_f32_e32 v65, 0xbf167918, v59
	v_mul_f32_e32 v67, 0xbf737871, v55
	v_fmac_f32_e32 v21, 0x3e9e377a, v3
	v_mul_f32_e32 v3, 0xbf167918, v53
	v_add_f32_e32 v11, v37, v11
	v_add_f32_e32 v13, v33, v13
	v_fmac_f32_e32 v63, 0xbf4f1bbd, v44
	v_fmac_f32_e32 v64, 0x3e9e377a, v60
	;; [unrolled: 1-line block ×6, first 2 shown]
	v_add_f32_e32 v11, v41, v11
	v_add_f32_e32 v13, v39, v13
	v_sub_f32_e32 v58, v61, v63
	v_sub_f32_e32 v57, v64, v66
	;; [unrolled: 1-line block ×3, first 2 shown]
	v_add_f32_e32 v61, v61, v63
	v_add_f32_e32 v64, v64, v66
	;; [unrolled: 1-line block ×5, first 2 shown]
	v_sub_f32_e32 v59, v21, v3
	v_sub_f32_e32 v62, v11, v13
	ds_write2_b64 v56, v[65:66], v[63:64] offset0:150 offset1:151
	ds_write2_b64 v56, v[61:62], v[59:60] offset0:152 offset1:153
	ds_write_b64 v56, v[57:58] offset:1232
.LBB0_15:
	s_or_b64 exec, exec, s[4:5]
	v_add_f32_e32 v11, v26, v28
	v_fma_f32 v11, -0.5, v11, v4
	v_sub_f32_e32 v9, v9, v29
	v_mov_b32_e32 v13, v11
	v_fmac_f32_e32 v13, 0x3f737871, v9
	v_sub_f32_e32 v15, v27, v25
	v_sub_f32_e32 v21, v10, v28
	v_sub_f32_e32 v25, v30, v26
	v_fmac_f32_e32 v11, 0xbf737871, v9
	v_fmac_f32_e32 v13, 0x3f167918, v15
	v_add_f32_e32 v21, v25, v21
	v_fmac_f32_e32 v11, 0xbf167918, v15
	v_fmac_f32_e32 v13, 0x3e9e377a, v21
	;; [unrolled: 1-line block ×3, first 2 shown]
	v_add_f32_e32 v21, v30, v10
	v_add_f32_e32 v3, v10, v4
	v_fmac_f32_e32 v4, -0.5, v21
	v_mov_b32_e32 v21, v4
	v_fmac_f32_e32 v21, 0xbf737871, v15
	v_fmac_f32_e32 v4, 0x3f737871, v15
	v_add_f32_e32 v6, v8, v6
	v_add_f32_e32 v3, v28, v3
	v_fmac_f32_e32 v21, 0x3f167918, v9
	v_fmac_f32_e32 v4, 0xbf167918, v9
	v_add_f32_e32 v6, v20, v6
	v_mul_f32_e32 v9, 0x3e9e377a, v17
	v_add_f32_e32 v3, v26, v3
	v_add_f32_e32 v6, v18, v6
	v_fma_f32 v5, v5, s6, -v9
	v_mul_f32_e32 v9, 0x3f4f1bbd, v49
	v_add_f32_e32 v3, v30, v3
	v_add_f32_e32 v6, v22, v6
	v_fma_f32 v9, v45, s7, -v9
	v_add_f32_e32 v29, v6, v3
	v_add_f32_e32 v57, v11, v9
	v_sub_f32_e32 v58, v3, v6
	v_sub_f32_e32 v62, v11, v9
	v_lshlrev_b32_e32 v11, 2, v43
	v_lshlrev_b32_e32 v3, 2, v0
	v_sub_f32_e32 v10, v28, v10
	v_sub_f32_e32 v25, v26, v30
	v_mul_f32_e32 v8, 0x3f167918, v47
	v_add3_u32 v26, 0, v11, v3
	v_add_u32_e32 v3, 0, v3
	v_add_f32_e32 v10, v25, v10
	v_fmac_f32_e32 v8, 0x3f4f1bbd, v7
	v_mul_f32_e32 v7, 0x3f737871, v48
	v_add_u32_e32 v27, v3, v11
	v_fmac_f32_e32 v21, 0x3e9e377a, v10
	v_fmac_f32_e32 v4, 0x3e9e377a, v10
	;; [unrolled: 1-line block ×3, first 2 shown]
	v_add_u32_e32 v28, 0x400, v27
	v_add_f32_e32 v30, v13, v8
	v_add_f32_e32 v47, v21, v7
	;; [unrolled: 1-line block ×3, first 2 shown]
	v_sub_f32_e32 v59, v13, v8
	v_sub_f32_e32 v60, v21, v7
	;; [unrolled: 1-line block ×3, first 2 shown]
	s_waitcnt lgkmcnt(0)
	s_barrier
	ds_read_b32 v13, v26
	ds_read2_b32 v[21:22], v27 offset0:90 offset1:120
	ds_read2_b32 v[7:8], v27 offset0:150 offset1:180
	;; [unrolled: 1-line block ×7, first 2 shown]
	v_add_u32_e32 v25, 30, v0
	s_waitcnt lgkmcnt(0)
	s_barrier
	ds_write2_b64 v56, v[29:30], v[47:48] offset1:1
	ds_write2_b64 v56, v[57:58], v[59:60] offset0:2 offset1:3
	ds_write_b64 v56, v[61:62] offset:32
	s_and_saveexec_b64 s[4:5], s[0:1]
	s_cbranch_execz .LBB0_17
; %bb.16:
	v_add_f32_e32 v15, v24, v12
	v_add_f32_e32 v15, v36, v15
	;; [unrolled: 1-line block ×5, first 2 shown]
	v_fma_f32 v39, -0.5, v15, v12
	v_sub_f32_e32 v15, v23, v41
	v_mov_b32_e32 v31, v39
	v_fmac_f32_e32 v31, 0x3f737871, v15
	v_sub_f32_e32 v23, v35, v37
	v_sub_f32_e32 v29, v24, v36
	;; [unrolled: 1-line block ×3, first 2 shown]
	v_fmac_f32_e32 v39, 0xbf737871, v15
	v_fmac_f32_e32 v31, 0x3f167918, v23
	v_add_f32_e32 v29, v33, v29
	v_fmac_f32_e32 v39, 0xbf167918, v23
	v_fmac_f32_e32 v31, 0x3e9e377a, v29
	;; [unrolled: 1-line block ×3, first 2 shown]
	v_add_f32_e32 v29, v42, v24
	v_fmac_f32_e32 v12, -0.5, v29
	v_mov_b32_e32 v33, v12
	v_fmac_f32_e32 v33, 0xbf737871, v23
	v_sub_f32_e32 v24, v36, v24
	v_sub_f32_e32 v29, v38, v42
	v_fmac_f32_e32 v12, 0x3f737871, v23
	v_add_f32_e32 v14, v16, v14
	v_fmac_f32_e32 v33, 0x3f167918, v15
	v_add_f32_e32 v24, v29, v24
	;; [unrolled: 2-line block ×3, first 2 shown]
	s_mov_b32 s0, 0x3f737871
	v_fmac_f32_e32 v33, 0x3e9e377a, v24
	v_fmac_f32_e32 v12, 0x3e9e377a, v24
	v_add_f32_e32 v14, v34, v14
	v_mul_f32_e32 v32, 0x3f167918, v46
	v_mul_f32_e32 v34, 0x3f737871, v51
	;; [unrolled: 1-line block ×3, first 2 shown]
	v_fmac_f32_e32 v32, 0x3f4f1bbd, v53
	v_fmac_f32_e32 v34, 0x3e9e377a, v55
	v_fma_f32 v35, v50, s0, -v24
	v_add_f32_e32 v15, v31, v32
	v_add_f32_e32 v23, v33, v34
	;; [unrolled: 1-line block ×3, first 2 shown]
	v_sub_f32_e32 v31, v31, v32
	v_sub_f32_e32 v32, v33, v34
	;; [unrolled: 1-line block ×3, first 2 shown]
	v_mul_u32_u24_e32 v12, 10, v25
	s_mov_b32 s1, 0x3f167918
	v_add_f32_e32 v16, v40, v14
	v_mul_f32_e32 v29, 0x3f4f1bbd, v52
	v_lshlrev_b32_e32 v12, 2, v12
	v_add_f32_e32 v14, v16, v30
	v_fma_f32 v36, v44, s1, -v29
	v_add3_u32 v12, 0, v12, v11
	v_add_f32_e32 v29, v39, v36
	v_sub_f32_e32 v30, v30, v16
	v_sub_f32_e32 v34, v39, v36
	ds_write2_b64 v12, v[14:15], v[23:24] offset1:1
	ds_write2_b64 v12, v[29:30], v[31:32] offset0:2 offset1:3
	ds_write_b64 v12, v[33:34] offset:32
.LBB0_17:
	s_or_b64 exec, exec, s[4:5]
	s_movk_i32 s0, 0xcd
	v_mul_lo_u16_sdwa v12, v0, s0 dst_sel:DWORD dst_unused:UNUSED_PAD src0_sel:BYTE_0 src1_sel:DWORD
	v_lshrrev_b16_e32 v16, 11, v12
	v_mul_lo_u16_e32 v12, 10, v16
	v_sub_u16_e32 v24, v0, v12
	v_mov_b32_e32 v12, 5
	v_lshlrev_b32_sdwa v14, v12, v24 dst_sel:DWORD dst_unused:UNUSED_PAD src0_sel:DWORD src1_sel:BYTE_0
	s_waitcnt lgkmcnt(0)
	s_barrier
	global_load_dwordx4 v[29:32], v14, s[8:9]
	global_load_dwordx4 v[33:36], v14, s[8:9] offset:16
	v_mul_lo_u16_sdwa v14, v25, s0 dst_sel:DWORD dst_unused:UNUSED_PAD src0_sel:BYTE_0 src1_sel:DWORD
	v_lshrrev_b16_e32 v65, 11, v14
	v_mul_lo_u16_e32 v14, 10, v65
	v_sub_u16_e32 v66, v25, v14
	v_lshlrev_b32_sdwa v14, v12, v66 dst_sel:DWORD dst_unused:UNUSED_PAD src0_sel:DWORD src1_sel:BYTE_0
	v_add_u32_e32 v23, 60, v0
	global_load_dwordx4 v[37:40], v14, s[8:9]
	global_load_dwordx4 v[41:44], v14, s[8:9] offset:16
	v_mul_lo_u16_sdwa v14, v23, s0 dst_sel:DWORD dst_unused:UNUSED_PAD src0_sel:BYTE_0 src1_sel:DWORD
	v_lshrrev_b16_e32 v67, 11, v14
	v_mul_lo_u16_e32 v14, 10, v67
	v_sub_u16_e32 v68, v23, v14
	v_lshlrev_b32_sdwa v12, v12, v68 dst_sel:DWORD dst_unused:UNUSED_PAD src0_sel:DWORD src1_sel:BYTE_0
	global_load_dwordx4 v[45:48], v12, s[8:9]
	global_load_dwordx4 v[49:52], v12, s[8:9] offset:16
	ds_read_b32 v69, v26
	ds_read2_b32 v[14:15], v27 offset0:90 offset1:120
	ds_read2_b32 v[53:54], v27 offset0:150 offset1:180
	;; [unrolled: 1-line block ×7, first 2 shown]
	v_mov_b32_e32 v12, 2
	s_movk_i32 s0, 0xc8
	v_lshlrev_b32_sdwa v24, v12, v24 dst_sel:DWORD dst_unused:UNUSED_PAD src0_sel:DWORD src1_sel:BYTE_0
	v_lshlrev_b32_sdwa v66, v12, v66 dst_sel:DWORD dst_unused:UNUSED_PAD src0_sel:DWORD src1_sel:BYTE_0
	;; [unrolled: 1-line block ×3, first 2 shown]
	s_waitcnt vmcnt(0) lgkmcnt(0)
	s_barrier
	s_movk_i32 s4, 0x258
	v_mul_f32_e32 v70, v14, v30
	v_mul_f32_e32 v30, v21, v30
	;; [unrolled: 1-line block ×5, first 2 shown]
	v_fma_f32 v14, v14, v29, -v30
	v_fmac_f32_e32 v71, v8, v31
	v_fma_f32 v8, v54, v31, -v32
	v_mul_f32_e32 v30, v63, v44
	v_mul_f32_e32 v31, v9, v44
	v_fmac_f32_e32 v72, v19, v33
	v_mul_f32_e32 v34, v19, v34
	v_mul_f32_e32 v73, v58, v36
	;; [unrolled: 1-line block ×3, first 2 shown]
	v_fmac_f32_e32 v30, v9, v43
	v_fma_f32 v9, v63, v43, -v31
	v_add_f32_e32 v31, v71, v72
	v_mul_f32_e32 v74, v15, v38
	v_mul_f32_e32 v38, v22, v38
	v_fma_f32 v19, v55, v33, -v34
	v_fmac_f32_e32 v73, v6, v35
	v_fma_f32 v6, v58, v35, -v36
	v_mul_f32_e32 v32, v53, v46
	v_mul_f32_e32 v33, v7, v46
	;; [unrolled: 1-line block ×4, first 2 shown]
	v_fma_f32 v31, -0.5, v31, v13
	v_mul_f32_e32 v75, v61, v40
	v_mul_f32_e32 v40, v17, v40
	v_fmac_f32_e32 v70, v21, v29
	v_fmac_f32_e32 v74, v22, v37
	v_mul_f32_e32 v22, v57, v50
	v_mul_f32_e32 v36, v5, v50
	v_fma_f32 v15, v15, v37, -v38
	v_mul_f32_e32 v37, v64, v52
	v_mul_f32_e32 v38, v10, v52
	v_fmac_f32_e32 v32, v7, v45
	v_fma_f32 v7, v53, v45, -v33
	v_fmac_f32_e32 v34, v18, v47
	v_fma_f32 v18, v62, v47, -v35
	v_sub_f32_e32 v33, v14, v6
	v_mov_b32_e32 v35, v31
	v_fmac_f32_e32 v75, v17, v39
	v_fma_f32 v17, v61, v39, -v40
	v_fmac_f32_e32 v22, v5, v49
	v_fma_f32 v5, v57, v49, -v36
	;; [unrolled: 2-line block ×3, first 2 shown]
	v_fmac_f32_e32 v35, 0xbf737871, v33
	v_sub_f32_e32 v36, v8, v19
	v_sub_f32_e32 v38, v70, v71
	;; [unrolled: 1-line block ×3, first 2 shown]
	v_fmac_f32_e32 v31, 0x3f737871, v33
	v_fmac_f32_e32 v35, 0xbf167918, v36
	v_add_f32_e32 v38, v38, v39
	v_fmac_f32_e32 v31, 0x3f167918, v36
	v_mul_f32_e32 v21, v56, v42
	v_mul_f32_e32 v29, v20, v42
	v_fmac_f32_e32 v35, 0x3e9e377a, v38
	v_fmac_f32_e32 v31, 0x3e9e377a, v38
	v_add_f32_e32 v38, v70, v73
	v_fmac_f32_e32 v21, v20, v41
	v_fma_f32 v20, v56, v41, -v29
	v_add_f32_e32 v29, v13, v70
	v_fmac_f32_e32 v13, -0.5, v38
	v_mov_b32_e32 v38, v13
	v_fmac_f32_e32 v38, 0x3f737871, v36
	v_sub_f32_e32 v39, v71, v70
	v_sub_f32_e32 v40, v72, v73
	v_fmac_f32_e32 v13, 0xbf737871, v36
	v_add_f32_e32 v36, v8, v19
	v_fmac_f32_e32 v38, 0xbf167918, v33
	v_add_f32_e32 v39, v39, v40
	v_fmac_f32_e32 v13, 0x3f167918, v33
	v_fma_f32 v36, -0.5, v36, v69
	v_fmac_f32_e32 v38, 0x3e9e377a, v39
	v_fmac_f32_e32 v13, 0x3e9e377a, v39
	v_add_f32_e32 v33, v69, v14
	v_sub_f32_e32 v39, v70, v73
	v_mov_b32_e32 v51, v36
	v_add_f32_e32 v33, v33, v8
	v_fmac_f32_e32 v51, 0x3f737871, v39
	v_sub_f32_e32 v40, v71, v72
	v_sub_f32_e32 v41, v14, v8
	;; [unrolled: 1-line block ×3, first 2 shown]
	v_fmac_f32_e32 v36, 0xbf737871, v39
	v_add_f32_e32 v33, v33, v19
	v_fmac_f32_e32 v51, 0x3f167918, v40
	v_add_f32_e32 v41, v41, v42
	;; [unrolled: 2-line block ×3, first 2 shown]
	v_fmac_f32_e32 v51, 0x3e9e377a, v41
	v_fmac_f32_e32 v36, 0x3e9e377a, v41
	v_add_f32_e32 v41, v14, v6
	v_sub_f32_e32 v8, v8, v14
	v_sub_f32_e32 v6, v19, v6
	v_fmac_f32_e32 v69, -0.5, v41
	v_add_f32_e32 v6, v8, v6
	v_add_f32_e32 v8, v75, v21
	v_mov_b32_e32 v52, v69
	v_fma_f32 v8, -0.5, v8, v3
	v_fmac_f32_e32 v52, 0xbf737871, v40
	v_fmac_f32_e32 v69, 0x3f737871, v40
	v_sub_f32_e32 v14, v15, v9
	v_mov_b32_e32 v19, v8
	v_fmac_f32_e32 v52, 0x3f167918, v39
	v_fmac_f32_e32 v69, 0xbf167918, v39
	;; [unrolled: 1-line block ×3, first 2 shown]
	v_sub_f32_e32 v39, v17, v20
	v_sub_f32_e32 v40, v74, v75
	;; [unrolled: 1-line block ×3, first 2 shown]
	v_fmac_f32_e32 v8, 0x3f737871, v14
	v_fmac_f32_e32 v19, 0xbf167918, v39
	v_add_f32_e32 v40, v40, v41
	v_fmac_f32_e32 v8, 0x3f167918, v39
	v_fmac_f32_e32 v19, 0x3e9e377a, v40
	;; [unrolled: 1-line block ×3, first 2 shown]
	v_add_f32_e32 v40, v74, v30
	v_fmac_f32_e32 v52, 0x3e9e377a, v6
	v_fmac_f32_e32 v69, 0x3e9e377a, v6
	v_add_f32_e32 v6, v3, v74
	v_fma_f32 v3, -0.5, v40, v3
	v_mov_b32_e32 v40, v3
	v_add_f32_e32 v6, v6, v75
	v_fmac_f32_e32 v40, 0x3f737871, v39
	v_fmac_f32_e32 v3, 0xbf737871, v39
	v_add_f32_e32 v39, v17, v20
	v_add_f32_e32 v6, v6, v21
	v_sub_f32_e32 v41, v75, v74
	v_sub_f32_e32 v42, v21, v30
	v_fma_f32 v53, -0.5, v39, v59
	v_add_f32_e32 v6, v6, v30
	v_fmac_f32_e32 v40, 0xbf167918, v14
	v_add_f32_e32 v41, v41, v42
	v_fmac_f32_e32 v3, 0x3f167918, v14
	v_add_f32_e32 v14, v59, v15
	v_sub_f32_e32 v30, v74, v30
	v_mov_b32_e32 v54, v53
	v_fmac_f32_e32 v40, 0x3e9e377a, v41
	v_fmac_f32_e32 v3, 0x3e9e377a, v41
	v_add_f32_e32 v14, v14, v17
	v_fmac_f32_e32 v54, 0x3f737871, v30
	v_sub_f32_e32 v21, v75, v21
	v_sub_f32_e32 v39, v15, v17
	;; [unrolled: 1-line block ×3, first 2 shown]
	v_fmac_f32_e32 v53, 0xbf737871, v30
	v_add_f32_e32 v14, v14, v20
	v_fmac_f32_e32 v54, 0x3f167918, v21
	v_add_f32_e32 v39, v39, v41
	;; [unrolled: 2-line block ×3, first 2 shown]
	v_fmac_f32_e32 v54, 0x3e9e377a, v39
	v_fmac_f32_e32 v53, 0x3e9e377a, v39
	v_add_f32_e32 v39, v15, v9
	v_sub_f32_e32 v15, v17, v15
	v_sub_f32_e32 v9, v20, v9
	v_fma_f32 v55, -0.5, v39, v59
	v_add_f32_e32 v9, v15, v9
	v_add_f32_e32 v15, v34, v22
	v_mov_b32_e32 v56, v55
	v_fma_f32 v15, -0.5, v15, v4
	v_fmac_f32_e32 v56, 0xbf737871, v21
	v_fmac_f32_e32 v55, 0x3f737871, v21
	v_sub_f32_e32 v17, v7, v10
	v_mov_b32_e32 v20, v15
	v_fmac_f32_e32 v56, 0x3f167918, v30
	v_fmac_f32_e32 v55, 0xbf167918, v30
	;; [unrolled: 1-line block ×3, first 2 shown]
	v_sub_f32_e32 v21, v18, v5
	v_sub_f32_e32 v30, v32, v34
	;; [unrolled: 1-line block ×3, first 2 shown]
	v_fmac_f32_e32 v15, 0x3f737871, v17
	v_fmac_f32_e32 v20, 0xbf167918, v21
	v_add_f32_e32 v30, v30, v39
	v_fmac_f32_e32 v15, 0x3f167918, v21
	v_fmac_f32_e32 v20, 0x3e9e377a, v30
	;; [unrolled: 1-line block ×3, first 2 shown]
	v_add_f32_e32 v30, v32, v37
	v_fmac_f32_e32 v56, 0x3e9e377a, v9
	v_fmac_f32_e32 v55, 0x3e9e377a, v9
	v_add_f32_e32 v9, v4, v32
	v_fmac_f32_e32 v4, -0.5, v30
	v_mov_b32_e32 v30, v4
	v_fmac_f32_e32 v30, 0x3f737871, v21
	v_fmac_f32_e32 v4, 0xbf737871, v21
	v_add_f32_e32 v21, v18, v5
	v_add_f32_e32 v9, v9, v34
	v_fma_f32 v21, -0.5, v21, v60
	v_add_f32_e32 v9, v9, v22
	v_sub_f32_e32 v39, v34, v32
	v_sub_f32_e32 v32, v32, v37
	v_mov_b32_e32 v57, v21
	v_add_f32_e32 v9, v9, v37
	v_sub_f32_e32 v41, v22, v37
	v_fmac_f32_e32 v57, 0x3f737871, v32
	v_sub_f32_e32 v22, v34, v22
	v_sub_f32_e32 v34, v7, v18
	;; [unrolled: 1-line block ×3, first 2 shown]
	v_fmac_f32_e32 v21, 0xbf737871, v32
	v_fmac_f32_e32 v57, 0x3f167918, v22
	v_add_f32_e32 v34, v34, v37
	v_fmac_f32_e32 v21, 0xbf167918, v22
	v_fmac_f32_e32 v57, 0x3e9e377a, v34
	;; [unrolled: 1-line block ×3, first 2 shown]
	v_add_f32_e32 v34, v7, v10
	v_fmac_f32_e32 v30, 0xbf167918, v17
	v_fmac_f32_e32 v4, 0x3f167918, v17
	v_add_f32_e32 v17, v60, v7
	v_fmac_f32_e32 v60, -0.5, v34
	v_add_f32_e32 v17, v17, v18
	v_mov_b32_e32 v34, v60
	v_add_f32_e32 v17, v17, v5
	v_fmac_f32_e32 v34, 0xbf737871, v22
	v_sub_f32_e32 v7, v18, v7
	v_sub_f32_e32 v5, v5, v10
	v_fmac_f32_e32 v60, 0x3f737871, v22
	v_add_f32_e32 v29, v29, v71
	v_fmac_f32_e32 v34, 0x3f167918, v32
	v_add_f32_e32 v5, v7, v5
	;; [unrolled: 2-line block ×3, first 2 shown]
	v_fmac_f32_e32 v34, 0x3e9e377a, v5
	v_fmac_f32_e32 v60, 0x3e9e377a, v5
	v_mad_u32_u24 v5, v16, s0, 0
	v_mad_u32_u24 v7, v65, s0, 0
	v_add_f32_e32 v29, v29, v73
	v_add3_u32 v5, v5, v24, v11
	v_add3_u32 v7, v7, v66, v11
	ds_write2_b32 v5, v29, v35 offset1:10
	ds_write2_b32 v5, v38, v13 offset0:20 offset1:30
	ds_write_b32 v5, v31 offset:160
	ds_write2_b32 v7, v6, v19 offset1:10
	ds_write2_b32 v7, v40, v3 offset0:20 offset1:30
	ds_write_b32 v7, v8 offset:160
	v_mad_u32_u24 v3, v67, s0, 0
	v_add_f32_e32 v39, v39, v41
	v_add3_u32 v3, v3, v68, v11
	v_fmac_f32_e32 v30, 0x3e9e377a, v39
	v_fmac_f32_e32 v4, 0x3e9e377a, v39
	v_add_f32_e32 v17, v17, v10
	ds_write2_b32 v3, v9, v20 offset1:10
	ds_write2_b32 v3, v30, v4 offset0:20 offset1:30
	ds_write_b32 v3, v15 offset:160
	s_waitcnt lgkmcnt(0)
	s_barrier
	ds_read_b32 v24, v26
	ds_read2_b32 v[37:38], v27 offset0:150 offset1:180
	ds_read2_b32 v[39:40], v28 offset0:14 offset1:44
	;; [unrolled: 1-line block ×7, first 2 shown]
	s_waitcnt lgkmcnt(0)
	s_barrier
	ds_write2_b32 v5, v33, v51 offset1:10
	ds_write2_b32 v5, v52, v69 offset0:20 offset1:30
	ds_write_b32 v5, v36 offset:160
	ds_write2_b32 v7, v14, v54 offset1:10
	ds_write2_b32 v7, v56, v55 offset0:20 offset1:30
	ds_write_b32 v7, v53 offset:160
	;; [unrolled: 3-line block ×3, first 2 shown]
	v_lshlrev_b32_e32 v5, 1, v0
	v_mov_b32_e32 v6, 0
	v_lshlrev_b64 v[3:4], 3, v[5:6]
	v_mov_b32_e32 v19, s9
	v_add_co_u32_e64 v3, s[0:1], s8, v3
	v_addc_co_u32_e64 v4, s[0:1], v19, v4, s[0:1]
	v_subrev_u32_e32 v13, 20, v0
	v_cmp_gt_u32_e64 s[0:1], 20, v0
	v_add_u32_e32 v5, 20, v5
	v_cndmask_b32_e64 v65, v13, v25, s[0:1]
	v_add_u32_e32 v22, 0x5a, v0
	v_lshlrev_b64 v[17:18], 3, v[5:6]
	v_mov_b32_e32 v5, 41
	v_lshlrev_b32_e32 v13, 1, v65
	v_mov_b32_e32 v14, v6
	v_mul_lo_u16_sdwa v21, v22, v5 dst_sel:DWORD dst_unused:UNUSED_PAD src0_sel:BYTE_0 src1_sel:DWORD
	v_lshlrev_b64 v[13:14], 3, v[13:14]
	v_lshrrev_b16_e32 v66, 11, v21
	v_mul_lo_u16_e32 v21, 50, v66
	s_waitcnt lgkmcnt(0)
	s_barrier
	global_load_dwordx4 v[7:10], v[3:4], off offset:320
	v_add_co_u32_e64 v13, s[0:1], s8, v13
	v_sub_u16_e32 v67, v22, v21
	v_mov_b32_e32 v33, 4
	v_addc_co_u32_e64 v14, s[0:1], v19, v14, s[0:1]
	v_lshlrev_b32_sdwa v21, v33, v67 dst_sel:DWORD dst_unused:UNUSED_PAD src0_sel:DWORD src1_sel:BYTE_0
	global_load_dwordx4 v[29:32], v21, s[8:9] offset:320
	v_add_co_u32_e64 v17, s[0:1], s8, v17
	global_load_dwordx4 v[13:16], v[13:14], off offset:320
	v_add_u32_e32 v21, 0x78, v0
	v_addc_co_u32_e64 v18, s[0:1], v19, v18, s[0:1]
	v_mul_lo_u16_sdwa v5, v21, v5 dst_sel:DWORD dst_unused:UNUSED_PAD src0_sel:BYTE_0 src1_sel:DWORD
	global_load_dwordx4 v[17:20], v[17:18], off offset:320
	v_lshrrev_b16_e32 v5, 11, v5
	v_mul_lo_u16_e32 v5, 50, v5
	v_sub_u16_e32 v5, v21, v5
	v_lshlrev_b32_sdwa v33, v33, v5 dst_sel:DWORD dst_unused:UNUSED_PAD src0_sel:DWORD src1_sel:BYTE_0
	global_load_dwordx4 v[33:36], v33, s[8:9] offset:320
	ds_read_b32 v68, v26
	ds_read2_b32 v[51:52], v27 offset0:150 offset1:180
	ds_read2_b32 v[53:54], v28 offset0:14 offset1:44
	;; [unrolled: 1-line block ×7, first 2 shown]
	v_cmp_lt_u32_e64 s[0:1], 19, v0
	v_lshlrev_b32_sdwa v5, v12, v5 dst_sel:DWORD dst_unused:UNUSED_PAD src0_sel:DWORD src1_sel:BYTE_0
	s_waitcnt vmcnt(0) lgkmcnt(0)
	s_barrier
	v_add3_u32 v5, 0, v5, v11
	v_mul_f32_e32 v69, v51, v8
	v_mul_f32_e32 v8, v37, v8
	v_fmac_f32_e32 v69, v37, v7
	v_fma_f32 v7, v51, v7, -v8
	v_mul_f32_e32 v8, v54, v10
	v_mul_f32_e32 v10, v40, v10
	v_fmac_f32_e32 v8, v40, v9
	v_fma_f32 v9, v54, v9, -v10
	v_add_f32_e32 v37, v69, v8
	v_mul_f32_e32 v10, v52, v14
	v_mul_f32_e32 v14, v38, v14
	v_fmac_f32_e32 v10, v38, v13
	v_fma_f32 v13, v52, v13, -v14
	v_mul_f32_e32 v14, v57, v16
	v_mul_f32_e32 v16, v43, v16
	v_fmac_f32_e32 v14, v43, v15
	v_fma_f32 v15, v57, v15, -v16
	;; [unrolled: 4-line block ×8, first 2 shown]
	v_add_f32_e32 v36, v24, v69
	v_fmac_f32_e32 v24, -0.5, v37
	v_sub_f32_e32 v37, v7, v9
	v_mov_b32_e32 v38, v24
	v_fmac_f32_e32 v38, 0xbf5db3d7, v37
	v_fmac_f32_e32 v24, 0x3f5db3d7, v37
	v_add_f32_e32 v37, v68, v7
	v_add_f32_e32 v7, v7, v9
	;; [unrolled: 1-line block ×3, first 2 shown]
	v_fmac_f32_e32 v68, -0.5, v7
	v_sub_f32_e32 v7, v69, v8
	v_add_f32_e32 v8, v10, v14
	v_fma_f32 v8, -0.5, v8, v41
	v_add_f32_e32 v37, v37, v9
	v_sub_f32_e32 v9, v13, v15
	v_mov_b32_e32 v40, v8
	v_mov_b32_e32 v39, v68
	v_fmac_f32_e32 v40, 0xbf5db3d7, v9
	v_fmac_f32_e32 v8, 0x3f5db3d7, v9
	v_add_f32_e32 v9, v55, v13
	v_fmac_f32_e32 v39, 0x3f5db3d7, v7
	v_fmac_f32_e32 v68, 0xbf5db3d7, v7
	v_add_f32_e32 v7, v41, v10
	v_add_f32_e32 v41, v9, v15
	;; [unrolled: 1-line block ×3, first 2 shown]
	v_fma_f32 v43, -0.5, v9, v55
	v_sub_f32_e32 v9, v10, v14
	v_mov_b32_e32 v44, v43
	v_add_f32_e32 v10, v16, v18
	v_fmac_f32_e32 v44, 0x3f5db3d7, v9
	v_fmac_f32_e32 v43, 0xbf5db3d7, v9
	v_add_f32_e32 v9, v42, v16
	v_fmac_f32_e32 v42, -0.5, v10
	v_sub_f32_e32 v10, v17, v19
	v_mov_b32_e32 v13, v42
	v_add_f32_e32 v7, v7, v14
	v_fmac_f32_e32 v13, 0xbf5db3d7, v10
	v_fmac_f32_e32 v42, 0x3f5db3d7, v10
	v_add_f32_e32 v10, v56, v17
	v_add_f32_e32 v14, v20, v30
	;; [unrolled: 1-line block ×4, first 2 shown]
	v_fma_f32 v14, -0.5, v14, v47
	v_fmac_f32_e32 v56, -0.5, v10
	v_sub_f32_e32 v10, v16, v18
	v_sub_f32_e32 v15, v29, v31
	v_mov_b32_e32 v16, v14
	v_mov_b32_e32 v46, v56
	v_fmac_f32_e32 v16, 0xbf5db3d7, v15
	v_fmac_f32_e32 v14, 0x3f5db3d7, v15
	v_add_f32_e32 v15, v61, v29
	v_fmac_f32_e32 v46, 0x3f5db3d7, v10
	v_fmac_f32_e32 v56, 0xbf5db3d7, v10
	v_add_f32_e32 v10, v47, v20
	v_add_f32_e32 v47, v15, v31
	v_add_f32_e32 v15, v29, v31
	v_fma_f32 v29, -0.5, v15, v61
	v_add_f32_e32 v10, v10, v30
	v_sub_f32_e32 v15, v20, v30
	v_mov_b32_e32 v30, v29
	v_add_f32_e32 v17, v32, v34
	v_fmac_f32_e32 v30, 0x3f5db3d7, v15
	v_fmac_f32_e32 v29, 0xbf5db3d7, v15
	v_add_f32_e32 v15, v48, v32
	v_fmac_f32_e32 v48, -0.5, v17
	v_add_f32_e32 v9, v9, v18
	v_sub_f32_e32 v17, v33, v35
	v_mov_b32_e32 v18, v48
	v_fmac_f32_e32 v18, 0xbf5db3d7, v17
	v_fmac_f32_e32 v48, 0x3f5db3d7, v17
	v_add_f32_e32 v17, v62, v33
	v_add_f32_e32 v31, v17, v35
	v_add_f32_e32 v17, v33, v35
	v_fmac_f32_e32 v62, -0.5, v17
	v_sub_f32_e32 v17, v32, v34
	v_mov_b32_e32 v32, v62
	v_fmac_f32_e32 v32, 0x3f5db3d7, v17
	v_fmac_f32_e32 v62, 0xbf5db3d7, v17
	v_mov_b32_e32 v17, 0x258
	v_cndmask_b32_e64 v17, 0, v17, s[0:1]
	v_add_u32_e32 v17, 0, v17
	v_lshlrev_b32_e32 v19, 2, v65
	v_add3_u32 v33, v17, v19, v11
	ds_write2_b32 v27, v36, v38 offset1:50
	ds_write_b32 v27, v24 offset:400
	ds_write2_b32 v33, v7, v40 offset1:50
	ds_write_b32 v33, v8 offset:400
	ds_write2_b32 v27, v9, v13 offset0:160 offset1:210
	ds_write_b32 v27, v42 offset:1040
	v_mad_u32_u24 v7, v66, s4, 0
	v_lshlrev_b32_sdwa v8, v12, v67 dst_sel:DWORD dst_unused:UNUSED_PAD src0_sel:DWORD src1_sel:BYTE_0
	v_add_f32_e32 v15, v15, v34
	v_add3_u32 v34, v7, v8, v11
	v_add_u32_e32 v35, 0x400, v5
	ds_write2_b32 v34, v10, v16 offset1:50
	ds_write_b32 v34, v14 offset:400
	ds_write2_b32 v35, v15, v18 offset0:44 offset1:94
	ds_write_b32 v5, v48 offset:1600
	s_waitcnt lgkmcnt(0)
	s_barrier
	ds_read_b32 v24, v26
	ds_read2_b32 v[9:10], v27 offset0:150 offset1:180
	ds_read2_b32 v[7:8], v28 offset0:14 offset1:44
	;; [unrolled: 1-line block ×7, first 2 shown]
	s_waitcnt lgkmcnt(0)
	s_barrier
	ds_write2_b32 v27, v37, v39 offset1:50
	ds_write_b32 v27, v68 offset:400
	ds_write2_b32 v33, v41, v44 offset1:50
	ds_write_b32 v33, v43 offset:400
	ds_write2_b32 v27, v45, v46 offset0:160 offset1:210
	ds_write_b32 v27, v56 offset:1040
	ds_write2_b32 v34, v47, v30 offset1:50
	ds_write_b32 v34, v29 offset:400
	ds_write2_b32 v35, v31, v32 offset0:44 offset1:94
	ds_write_b32 v5, v62 offset:1600
	s_waitcnt lgkmcnt(0)
	s_barrier
	s_and_saveexec_b64 s[0:1], vcc
	s_cbranch_execz .LBB0_19
; %bb.18:
	v_lshlrev_b32_e32 v5, 1, v21
	v_lshlrev_b64 v[28:29], 3, v[5:6]
	v_lshlrev_b32_e32 v5, 1, v22
	v_mov_b32_e32 v40, s9
	v_add_co_u32_e32 v28, vcc, s8, v28
	v_lshlrev_b64 v[32:33], 3, v[5:6]
	v_addc_co_u32_e32 v29, vcc, v40, v29, vcc
	v_lshlrev_b32_e32 v5, 1, v23
	v_add_co_u32_e32 v32, vcc, s8, v32
	v_lshlrev_b64 v[36:37], 3, v[5:6]
	global_load_dwordx4 v[28:31], v[28:29], off offset:1120
	v_addc_co_u32_e32 v33, vcc, v40, v33, vcc
	global_load_dwordx4 v[32:35], v[32:33], off offset:1120
	v_add_co_u32_e32 v36, vcc, s8, v36
	v_addc_co_u32_e32 v37, vcc, v40, v37, vcc
	global_load_dwordx4 v[36:39], v[36:37], off offset:1120
	v_lshlrev_b32_e32 v5, 1, v25
	v_lshlrev_b64 v[5:6], 3, v[5:6]
	v_add_u32_e32 v54, 0x400, v27
	v_add_co_u32_e32 v5, vcc, s8, v5
	v_addc_co_u32_e32 v6, vcc, v40, v6, vcc
	global_load_dwordx4 v[40:43], v[5:6], off offset:1120
	ds_read2_b32 v[44:45], v27 offset0:90 offset1:120
	ds_read2_b32 v[46:47], v27 offset0:210 offset1:240
	;; [unrolled: 1-line block ×6, first 2 shown]
	global_load_dwordx4 v[3:6], v[3:4], off offset:1120
	s_movk_i32 s4, 0x12c
	s_waitcnt vmcnt(4)
	v_mul_f32_e32 v56, v7, v29
	v_mul_f32_e32 v57, v20, v31
	s_waitcnt lgkmcnt(1)
	v_mul_f32_e32 v31, v53, v31
	v_mul_f32_e32 v29, v50, v29
	v_fma_f32 v50, v50, v28, -v56
	v_fma_f32 v53, v53, v30, -v57
	v_fmac_f32_e32 v31, v20, v30
	s_waitcnt vmcnt(3)
	v_mul_f32_e32 v30, v47, v33
	v_mul_f32_e32 v56, v52, v35
	v_fmac_f32_e32 v29, v7, v28
	v_mul_f32_e32 v7, v16, v33
	v_add_f32_e32 v28, v50, v53
	v_fmac_f32_e32 v30, v16, v32
	v_fmac_f32_e32 v56, v19, v34
	v_mul_f32_e32 v20, v19, v35
	v_add_f32_e32 v33, v45, v50
	v_add_f32_e32 v58, v18, v29
	v_fma_f32 v7, v47, v32, -v7
	s_waitcnt vmcnt(2)
	v_mul_f32_e32 v16, v15, v37
	v_mul_f32_e32 v32, v14, v39
	v_fma_f32 v19, -0.5, v28, v45
	v_add_f32_e32 v45, v30, v56
	v_sub_f32_e32 v57, v29, v31
	v_add_f32_e32 v35, v29, v31
	v_sub_f32_e32 v50, v50, v53
	v_fma_f32 v20, v52, v34, -v20
	v_add_f32_e32 v29, v33, v53
	v_add_f32_e32 v28, v58, v31
	;; [unrolled: 1-line block ×3, first 2 shown]
	v_fma_f32 v53, v46, v36, -v16
	s_waitcnt lgkmcnt(0)
	v_fma_f32 v58, v55, v38, -v32
	v_fma_f32 v32, -0.5, v45, v17
	v_fma_f32 v18, -0.5, v35, v18
	v_add_f32_e32 v33, v7, v20
	v_sub_f32_e32 v7, v7, v20
	v_add_f32_e32 v35, v34, v20
	v_add_f32_e32 v20, v53, v58
	v_mov_b32_e32 v16, v32
	v_fmac_f32_e32 v32, 0xbf5db3d7, v7
	v_fma_f32 v45, -0.5, v20, v49
	v_fmac_f32_e32 v16, 0x3f5db3d7, v7
	v_mul_f32_e32 v7, v46, v37
	v_mul_f32_e32 v20, v55, v39
	v_fmac_f32_e32 v7, v15, v36
	v_fmac_f32_e32 v20, v14, v38
	v_sub_f32_e32 v14, v7, v20
	v_mov_b32_e32 v15, v45
	v_fmac_f32_e32 v15, 0xbf5db3d7, v14
	v_fmac_f32_e32 v45, 0x3f5db3d7, v14
	v_add_f32_e32 v14, v49, v53
	ds_read2_b32 v[38:39], v27 offset0:150 offset1:180
	v_add_f32_e32 v37, v14, v58
	v_add_f32_e32 v14, v7, v20
	v_fma_f32 v33, -0.5, v33, v44
	v_fma_f32 v44, -0.5, v14, v12
	v_sub_f32_e32 v36, v53, v58
	v_mov_b32_e32 v14, v44
	v_add_f32_e32 v7, v12, v7
	v_fmac_f32_e32 v14, 0x3f5db3d7, v36
	v_fmac_f32_e32 v44, 0xbf5db3d7, v36
	v_add_f32_e32 v36, v7, v20
	s_waitcnt vmcnt(1)
	v_mul_f32_e32 v7, v10, v41
	v_mul_f32_e32 v12, v13, v43
	s_waitcnt lgkmcnt(0)
	v_fma_f32 v7, v39, v40, -v7
	v_fma_f32 v12, v54, v42, -v12
	v_sub_f32_e32 v47, v30, v56
	v_add_f32_e32 v52, v17, v30
	v_mov_b32_e32 v17, v33
	v_add_f32_e32 v20, v7, v12
	v_fmac_f32_e32 v33, 0x3f5db3d7, v47
	v_fmac_f32_e32 v17, 0xbf5db3d7, v47
	v_fma_f32 v47, -0.5, v20, v48
	v_mul_f32_e32 v20, v39, v41
	v_fmac_f32_e32 v20, v10, v40
	v_mul_f32_e32 v10, v54, v43
	v_fmac_f32_e32 v10, v13, v42
	v_sub_f32_e32 v27, v20, v10
	v_mov_b32_e32 v13, v47
	v_fmac_f32_e32 v13, 0xbf5db3d7, v27
	v_fmac_f32_e32 v47, 0x3f5db3d7, v27
	v_add_f32_e32 v27, v48, v7
	v_add_f32_e32 v40, v27, v12
	;; [unrolled: 1-line block ×3, first 2 shown]
	v_fma_f32 v46, -0.5, v27, v11
	v_sub_f32_e32 v7, v7, v12
	v_mov_b32_e32 v12, v46
	v_fmac_f32_e32 v12, 0x3f5db3d7, v7
	v_fmac_f32_e32 v46, 0xbf5db3d7, v7
	v_add_f32_e32 v7, v11, v20
	v_add_f32_e32 v39, v7, v10
	ds_read_b32 v10, v26
	s_waitcnt vmcnt(0)
	v_mul_f32_e32 v7, v9, v4
	v_fma_f32 v20, v38, v3, -v7
	v_mul_f32_e32 v7, v8, v6
	v_fma_f32 v26, v51, v5, -v7
	v_add_f32_e32 v7, v20, v26
	v_mul_f32_e32 v38, v38, v4
	v_mul_f32_e32 v41, v51, v6
	s_waitcnt lgkmcnt(0)
	v_fma_f32 v7, -0.5, v7, v10
	v_fmac_f32_e32 v38, v9, v3
	v_fmac_f32_e32 v41, v8, v5
	v_sub_f32_e32 v3, v38, v41
	v_mov_b32_e32 v4, v7
	v_fmac_f32_e32 v4, 0xbf5db3d7, v3
	v_fmac_f32_e32 v7, 0x3f5db3d7, v3
	v_add_f32_e32 v3, v10, v20
	v_mad_u64_u32 v[10:11], s[0:1], s2, v0, 0
	v_add_f32_e32 v9, v3, v26
	v_add_f32_e32 v3, v38, v41
	v_fma_f32 v6, -0.5, v3, v24
	v_mov_b32_e32 v5, v11
	v_sub_f32_e32 v8, v20, v26
	v_mad_u64_u32 v[26:27], s[0:1], s3, v0, v[5:6]
	v_mov_b32_e32 v3, v6
	v_add_f32_e32 v5, v24, v38
	v_fmac_f32_e32 v3, 0x3f5db3d7, v8
	v_fmac_f32_e32 v6, 0xbf5db3d7, v8
	v_add_f32_e32 v8, v5, v41
	v_mov_b32_e32 v11, v26
	v_mov_b32_e32 v5, s13
	v_add_co_u32_e32 v20, vcc, s12, v1
	v_add_u32_e32 v26, 0x96, v0
	v_addc_co_u32_e32 v24, vcc, v5, v2, vcc
	v_lshlrev_b64 v[1:2], 3, v[10:11]
	v_mad_u64_u32 v[10:11], s[0:1], s2, v26, 0
	v_add_co_u32_e32 v1, vcc, v20, v1
	v_mov_b32_e32 v5, v11
	v_mad_u64_u32 v[26:27], s[0:1], s3, v26, v[5:6]
	v_add_u32_e32 v27, 0x12c, v0
	v_addc_co_u32_e32 v2, vcc, v24, v2, vcc
	v_mad_u64_u32 v[41:42], s[0:1], s2, v27, 0
	v_mov_b32_e32 v11, v26
	global_store_dwordx2 v[1:2], v[8:9], off
	v_lshlrev_b64 v[1:2], 3, v[10:11]
	v_mov_b32_e32 v5, v42
	v_add_co_u32_e32 v1, vcc, v20, v1
	v_addc_co_u32_e32 v2, vcc, v24, v2, vcc
	v_mad_u64_u32 v[8:9], s[0:1], s3, v27, v[5:6]
	global_store_dwordx2 v[1:2], v[6:7], off
	v_mad_u64_u32 v[5:6], s[0:1], s2, v25, 0
	v_mov_b32_e32 v42, v8
	v_add_u32_e32 v9, 0xb4, v0
	v_mad_u64_u32 v[6:7], s[0:1], s3, v25, v[6:7]
	v_lshlrev_b64 v[1:2], 3, v[41:42]
	v_mad_u64_u32 v[7:8], s[0:1], s2, v9, 0
	v_add_co_u32_e32 v1, vcc, v20, v1
	v_addc_co_u32_e32 v2, vcc, v24, v2, vcc
	global_store_dwordx2 v[1:2], v[3:4], off
	v_mov_b32_e32 v3, v8
	v_mad_u64_u32 v[3:4], s[0:1], s3, v9, v[3:4]
	v_lshlrev_b64 v[1:2], 3, v[5:6]
	v_add_u32_e32 v5, 0x14a, v0
	v_mov_b32_e32 v8, v3
	v_mad_u64_u32 v[3:4], s[0:1], s2, v5, 0
	v_add_co_u32_e32 v1, vcc, v20, v1
	v_addc_co_u32_e32 v2, vcc, v24, v2, vcc
	v_mad_u64_u32 v[4:5], s[0:1], s3, v5, v[4:5]
	global_store_dwordx2 v[1:2], v[39:40], off
	v_lshlrev_b64 v[1:2], 3, v[7:8]
	v_mad_u64_u32 v[5:6], s[0:1], s2, v23, 0
	v_add_co_u32_e32 v1, vcc, v20, v1
	v_addc_co_u32_e32 v2, vcc, v24, v2, vcc
	global_store_dwordx2 v[1:2], v[46:47], off
	v_lshlrev_b64 v[1:2], 3, v[3:4]
	v_mov_b32_e32 v3, v6
	v_mad_u64_u32 v[3:4], s[0:1], s3, v23, v[3:4]
	v_add_co_u32_e32 v1, vcc, v20, v1
	v_addc_co_u32_e32 v2, vcc, v24, v2, vcc
	v_mov_b32_e32 v6, v3
	global_store_dwordx2 v[1:2], v[12:13], off
	v_lshlrev_b64 v[1:2], 3, v[5:6]
	v_add_u32_e32 v5, 0xd2, v0
	v_mad_u64_u32 v[3:4], s[0:1], s2, v5, 0
	v_add_u32_e32 v7, 0x168, v0
	v_add_co_u32_e32 v1, vcc, v20, v1
	v_mad_u64_u32 v[4:5], s[0:1], s3, v5, v[4:5]
	v_mad_u64_u32 v[5:6], s[0:1], s2, v7, 0
	v_addc_co_u32_e32 v2, vcc, v24, v2, vcc
	global_store_dwordx2 v[1:2], v[36:37], off
	v_lshlrev_b64 v[1:2], 3, v[3:4]
	v_mov_b32_e32 v3, v6
	v_mad_u64_u32 v[3:4], s[0:1], s3, v7, v[3:4]
	v_add_co_u32_e32 v1, vcc, v20, v1
	v_mov_b32_e32 v6, v3
	v_mad_u64_u32 v[3:4], s[0:1], s2, v22, 0
	v_addc_co_u32_e32 v2, vcc, v24, v2, vcc
	global_store_dwordx2 v[1:2], v[44:45], off
	v_lshlrev_b64 v[1:2], 3, v[5:6]
	v_mad_u64_u32 v[4:5], s[0:1], s3, v22, v[4:5]
	v_add_u32_e32 v7, 0xf0, v0
	v_mad_u64_u32 v[5:6], s[0:1], s2, v7, 0
	v_add_co_u32_e32 v1, vcc, v20, v1
	v_addc_co_u32_e32 v2, vcc, v24, v2, vcc
	global_store_dwordx2 v[1:2], v[14:15], off
	v_lshlrev_b64 v[1:2], 3, v[3:4]
	v_mov_b32_e32 v3, v6
	v_mad_u64_u32 v[3:4], s[0:1], s3, v7, v[3:4]
	v_add_co_u32_e32 v1, vcc, v20, v1
	v_add_f32_e32 v34, v52, v56
	v_addc_co_u32_e32 v2, vcc, v24, v2, vcc
	v_mov_b32_e32 v6, v3
	global_store_dwordx2 v[1:2], v[34:35], off
	v_lshlrev_b64 v[1:2], 3, v[5:6]
	v_add_u32_e32 v5, 0x186, v0
	v_mad_u64_u32 v[3:4], s[0:1], s2, v5, 0
	s_mov_b32 s0, 0x1b4e81b5
	v_mul_hi_u32 v6, v21, s0
	v_add_co_u32_e32 v0, vcc, v20, v1
	v_addc_co_u32_e32 v1, vcc, v24, v2, vcc
	v_mov_b32_e32 v2, v4
	v_mad_u64_u32 v[4:5], s[0:1], s3, v5, v[2:3]
	v_lshrrev_b32_e32 v2, 4, v6
	v_mad_u32_u24 v7, v2, s4, v21
	v_mad_u64_u32 v[5:6], s[0:1], s2, v7, 0
	global_store_dwordx2 v[0:1], v[32:33], off
	v_lshlrev_b64 v[0:1], 3, v[3:4]
	v_mov_b32_e32 v2, v6
	v_mad_u64_u32 v[2:3], s[0:1], s3, v7, v[2:3]
	v_add_u32_e32 v4, 0x96, v7
	v_add_co_u32_e32 v0, vcc, v20, v0
	v_mov_b32_e32 v6, v2
	v_mad_u64_u32 v[2:3], s[0:1], s2, v4, 0
	v_addc_co_u32_e32 v1, vcc, v24, v1, vcc
	global_store_dwordx2 v[0:1], v[16:17], off
	v_lshlrev_b64 v[0:1], 3, v[5:6]
	v_mad_u64_u32 v[3:4], s[0:1], s3, v4, v[3:4]
	v_add_u32_e32 v6, 0x12c, v7
	v_mad_u64_u32 v[4:5], s[0:1], s2, v6, 0
	v_add_co_u32_e32 v0, vcc, v20, v0
	v_addc_co_u32_e32 v1, vcc, v24, v1, vcc
	global_store_dwordx2 v[0:1], v[28:29], off
	v_lshlrev_b64 v[0:1], 3, v[2:3]
	v_mov_b32_e32 v2, v5
	v_mad_u64_u32 v[2:3], s[0:1], s3, v6, v[2:3]
	v_add_co_u32_e32 v0, vcc, v20, v0
	v_mov_b32_e32 v31, v19
	v_fmac_f32_e32 v19, 0x3f5db3d7, v57
	v_mov_b32_e32 v30, v18
	v_fmac_f32_e32 v18, 0xbf5db3d7, v50
	v_addc_co_u32_e32 v1, vcc, v24, v1, vcc
	v_mov_b32_e32 v5, v2
	global_store_dwordx2 v[0:1], v[18:19], off
	v_lshlrev_b64 v[0:1], 3, v[4:5]
	v_fmac_f32_e32 v31, 0xbf5db3d7, v57
	v_add_co_u32_e32 v0, vcc, v20, v0
	v_fmac_f32_e32 v30, 0x3f5db3d7, v50
	v_addc_co_u32_e32 v1, vcc, v24, v1, vcc
	global_store_dwordx2 v[0:1], v[30:31], off
.LBB0_19:
	s_endpgm
	.section	.rodata,"a",@progbits
	.p2align	6, 0x0
	.amdhsa_kernel fft_rtc_back_len450_factors_10_5_3_3_wgs_120_tpt_30_halfLds_sp_ip_CI_sbrr_dirReg
		.amdhsa_group_segment_fixed_size 0
		.amdhsa_private_segment_fixed_size 0
		.amdhsa_kernarg_size 88
		.amdhsa_user_sgpr_count 6
		.amdhsa_user_sgpr_private_segment_buffer 1
		.amdhsa_user_sgpr_dispatch_ptr 0
		.amdhsa_user_sgpr_queue_ptr 0
		.amdhsa_user_sgpr_kernarg_segment_ptr 1
		.amdhsa_user_sgpr_dispatch_id 0
		.amdhsa_user_sgpr_flat_scratch_init 0
		.amdhsa_user_sgpr_private_segment_size 0
		.amdhsa_uses_dynamic_stack 0
		.amdhsa_system_sgpr_private_segment_wavefront_offset 0
		.amdhsa_system_sgpr_workgroup_id_x 1
		.amdhsa_system_sgpr_workgroup_id_y 0
		.amdhsa_system_sgpr_workgroup_id_z 0
		.amdhsa_system_sgpr_workgroup_info 0
		.amdhsa_system_vgpr_workitem_id 0
		.amdhsa_next_free_vgpr 76
		.amdhsa_next_free_sgpr 24
		.amdhsa_reserve_vcc 1
		.amdhsa_reserve_flat_scratch 0
		.amdhsa_float_round_mode_32 0
		.amdhsa_float_round_mode_16_64 0
		.amdhsa_float_denorm_mode_32 3
		.amdhsa_float_denorm_mode_16_64 3
		.amdhsa_dx10_clamp 1
		.amdhsa_ieee_mode 1
		.amdhsa_fp16_overflow 0
		.amdhsa_exception_fp_ieee_invalid_op 0
		.amdhsa_exception_fp_denorm_src 0
		.amdhsa_exception_fp_ieee_div_zero 0
		.amdhsa_exception_fp_ieee_overflow 0
		.amdhsa_exception_fp_ieee_underflow 0
		.amdhsa_exception_fp_ieee_inexact 0
		.amdhsa_exception_int_div_zero 0
	.end_amdhsa_kernel
	.text
.Lfunc_end0:
	.size	fft_rtc_back_len450_factors_10_5_3_3_wgs_120_tpt_30_halfLds_sp_ip_CI_sbrr_dirReg, .Lfunc_end0-fft_rtc_back_len450_factors_10_5_3_3_wgs_120_tpt_30_halfLds_sp_ip_CI_sbrr_dirReg
                                        ; -- End function
	.section	.AMDGPU.csdata,"",@progbits
; Kernel info:
; codeLenInByte = 9308
; NumSgprs: 28
; NumVgprs: 76
; ScratchSize: 0
; MemoryBound: 0
; FloatMode: 240
; IeeeMode: 1
; LDSByteSize: 0 bytes/workgroup (compile time only)
; SGPRBlocks: 3
; VGPRBlocks: 18
; NumSGPRsForWavesPerEU: 28
; NumVGPRsForWavesPerEU: 76
; Occupancy: 3
; WaveLimiterHint : 1
; COMPUTE_PGM_RSRC2:SCRATCH_EN: 0
; COMPUTE_PGM_RSRC2:USER_SGPR: 6
; COMPUTE_PGM_RSRC2:TRAP_HANDLER: 0
; COMPUTE_PGM_RSRC2:TGID_X_EN: 1
; COMPUTE_PGM_RSRC2:TGID_Y_EN: 0
; COMPUTE_PGM_RSRC2:TGID_Z_EN: 0
; COMPUTE_PGM_RSRC2:TIDIG_COMP_CNT: 0
	.type	__hip_cuid_6e6948ba33798c6b,@object ; @__hip_cuid_6e6948ba33798c6b
	.section	.bss,"aw",@nobits
	.globl	__hip_cuid_6e6948ba33798c6b
__hip_cuid_6e6948ba33798c6b:
	.byte	0                               ; 0x0
	.size	__hip_cuid_6e6948ba33798c6b, 1

	.ident	"AMD clang version 19.0.0git (https://github.com/RadeonOpenCompute/llvm-project roc-6.4.0 25133 c7fe45cf4b819c5991fe208aaa96edf142730f1d)"
	.section	".note.GNU-stack","",@progbits
	.addrsig
	.addrsig_sym __hip_cuid_6e6948ba33798c6b
	.amdgpu_metadata
---
amdhsa.kernels:
  - .args:
      - .actual_access:  read_only
        .address_space:  global
        .offset:         0
        .size:           8
        .value_kind:     global_buffer
      - .offset:         8
        .size:           8
        .value_kind:     by_value
      - .actual_access:  read_only
        .address_space:  global
        .offset:         16
        .size:           8
        .value_kind:     global_buffer
      - .actual_access:  read_only
        .address_space:  global
        .offset:         24
        .size:           8
        .value_kind:     global_buffer
      - .offset:         32
        .size:           8
        .value_kind:     by_value
      - .actual_access:  read_only
        .address_space:  global
        .offset:         40
        .size:           8
        .value_kind:     global_buffer
      - .actual_access:  read_only
        .address_space:  global
        .offset:         48
        .size:           8
        .value_kind:     global_buffer
      - .offset:         56
        .size:           4
        .value_kind:     by_value
      - .actual_access:  read_only
        .address_space:  global
        .offset:         64
        .size:           8
        .value_kind:     global_buffer
      - .actual_access:  read_only
        .address_space:  global
        .offset:         72
        .size:           8
        .value_kind:     global_buffer
      - .address_space:  global
        .offset:         80
        .size:           8
        .value_kind:     global_buffer
    .group_segment_fixed_size: 0
    .kernarg_segment_align: 8
    .kernarg_segment_size: 88
    .language:       OpenCL C
    .language_version:
      - 2
      - 0
    .max_flat_workgroup_size: 120
    .name:           fft_rtc_back_len450_factors_10_5_3_3_wgs_120_tpt_30_halfLds_sp_ip_CI_sbrr_dirReg
    .private_segment_fixed_size: 0
    .sgpr_count:     28
    .sgpr_spill_count: 0
    .symbol:         fft_rtc_back_len450_factors_10_5_3_3_wgs_120_tpt_30_halfLds_sp_ip_CI_sbrr_dirReg.kd
    .uniform_work_group_size: 1
    .uses_dynamic_stack: false
    .vgpr_count:     76
    .vgpr_spill_count: 0
    .wavefront_size: 64
amdhsa.target:   amdgcn-amd-amdhsa--gfx906
amdhsa.version:
  - 1
  - 2
...

	.end_amdgpu_metadata
